;; amdgpu-corpus repo=ROCm/MIOpen kind=compiled arch=gfx1250 opt=O3
	.amdgcn_target "amdgcn-amd-amdhsa--gfx1250"
	.amdhsa_code_object_version 6
	.text
	.protected	gridwise_generic_reduce_2_prepare ; -- Begin function gridwise_generic_reduce_2_prepare
	.globl	gridwise_generic_reduce_2_prepare
	.p2align	8
	.type	gridwise_generic_reduce_2_prepare,@function
gridwise_generic_reduce_2_prepare:      ; @gridwise_generic_reduce_2_prepare
; %bb.0:
	s_mov_b32 s2, exec_lo
	v_cmpx_eq_u32_e32 0, v0
	s_cbranch_execz .LBB0_2
; %bb.1:
	s_clause 0x2
	s_load_b96 s[4:6], s[0:1], 0x4
	s_load_b64 s[2:3], s[0:1], 0x20
	s_load_b64 s[8:9], s[0:1], 0x38
	s_wait_kmcnt 0x0
	v_dual_mov_b32 v7, 0 :: v_dual_mov_b32 v5, s4
	s_add_co_i32 s1, s5, -1
	s_add_co_i32 s7, s6, -1
	s_mul_i32 s0, s6, s5
	v_dual_mov_b32 v0, s5 :: v_dual_mov_b32 v1, s6
	v_dual_mov_b32 v2, s2 :: v_dual_mov_b32 v3, s3
	s_mul_i32 s1, s2, s1
	s_mul_i32 s2, s3, s7
	;; [unrolled: 1-line block ×3, first 2 shown]
	s_delay_alu instid0(SALU_CYCLE_1)
	v_dual_mov_b32 v4, s0 :: v_dual_mov_b32 v8, s4
	v_mov_b32_e32 v6, v5
	s_add_co_i32 s0, s1, s2
	global_store_b128 v7, v[0:3], s[8:9] offset:2048
	s_add_co_i32 s0, s0, 1
	s_wait_xcnt 0x0
	v_dual_mov_b32 v9, s4 :: v_dual_mov_b32 v2, s6
	global_store_b96 v7, v[4:6], s[8:9]
	s_wait_xcnt 0x0
	v_dual_mov_b32 v6, s0 :: v_dual_mov_b32 v5, v4
	s_clause 0x4
	global_store_b8 v7, v7, s[8:9] offset:2076
	global_store_b8 v7, v7, s[8:9] offset:12
	global_store_b64 v7, v[8:9], s[8:9] offset:16
	global_store_b96 v7, v[0:2], s[8:9] offset:2064
	global_store_b96 v7, v[4:6], s[8:9] offset:2080
.LBB0_2:
	s_endpgm
	.section	.rodata,"a",@progbits
	.p2align	6, 0x0
	.amdhsa_kernel gridwise_generic_reduce_2_prepare
		.amdhsa_group_segment_fixed_size 0
		.amdhsa_private_segment_fixed_size 0
		.amdhsa_kernarg_size 64
		.amdhsa_user_sgpr_count 2
		.amdhsa_user_sgpr_dispatch_ptr 0
		.amdhsa_user_sgpr_queue_ptr 0
		.amdhsa_user_sgpr_kernarg_segment_ptr 1
		.amdhsa_user_sgpr_dispatch_id 0
		.amdhsa_user_sgpr_kernarg_preload_length 0
		.amdhsa_user_sgpr_kernarg_preload_offset 0
		.amdhsa_user_sgpr_private_segment_size 0
		.amdhsa_wavefront_size32 1
		.amdhsa_uses_dynamic_stack 0
		.amdhsa_enable_private_segment 0
		.amdhsa_system_sgpr_workgroup_id_x 1
		.amdhsa_system_sgpr_workgroup_id_y 0
		.amdhsa_system_sgpr_workgroup_id_z 0
		.amdhsa_system_sgpr_workgroup_info 0
		.amdhsa_system_vgpr_workitem_id 0
		.amdhsa_next_free_vgpr 10
		.amdhsa_next_free_sgpr 10
		.amdhsa_named_barrier_count 0
		.amdhsa_reserve_vcc 0
		.amdhsa_float_round_mode_32 0
		.amdhsa_float_round_mode_16_64 0
		.amdhsa_float_denorm_mode_32 3
		.amdhsa_float_denorm_mode_16_64 3
		.amdhsa_fp16_overflow 0
		.amdhsa_memory_ordered 1
		.amdhsa_forward_progress 1
		.amdhsa_inst_pref_size 2
		.amdhsa_round_robin_scheduling 0
		.amdhsa_exception_fp_ieee_invalid_op 0
		.amdhsa_exception_fp_denorm_src 0
		.amdhsa_exception_fp_ieee_div_zero 0
		.amdhsa_exception_fp_ieee_overflow 0
		.amdhsa_exception_fp_ieee_underflow 0
		.amdhsa_exception_fp_ieee_inexact 0
		.amdhsa_exception_int_div_zero 0
	.end_amdhsa_kernel
	.text
.Lfunc_end0:
	.size	gridwise_generic_reduce_2_prepare, .Lfunc_end0-gridwise_generic_reduce_2_prepare
                                        ; -- End function
	.set gridwise_generic_reduce_2_prepare.num_vgpr, 10
	.set gridwise_generic_reduce_2_prepare.num_agpr, 0
	.set gridwise_generic_reduce_2_prepare.numbered_sgpr, 10
	.set gridwise_generic_reduce_2_prepare.num_named_barrier, 0
	.set gridwise_generic_reduce_2_prepare.private_seg_size, 0
	.set gridwise_generic_reduce_2_prepare.uses_vcc, 0
	.set gridwise_generic_reduce_2_prepare.uses_flat_scratch, 0
	.set gridwise_generic_reduce_2_prepare.has_dyn_sized_stack, 0
	.set gridwise_generic_reduce_2_prepare.has_recursion, 0
	.set gridwise_generic_reduce_2_prepare.has_indirect_call, 0
	.section	.AMDGPU.csdata,"",@progbits
; Kernel info:
; codeLenInByte = 240
; TotalNumSgprs: 10
; NumVgprs: 10
; ScratchSize: 0
; MemoryBound: 0
; FloatMode: 240
; IeeeMode: 1
; LDSByteSize: 0 bytes/workgroup (compile time only)
; SGPRBlocks: 0
; VGPRBlocks: 0
; NumSGPRsForWavesPerEU: 10
; NumVGPRsForWavesPerEU: 10
; NamedBarCnt: 0
; Occupancy: 16
; WaveLimiterHint : 1
; COMPUTE_PGM_RSRC2:SCRATCH_EN: 0
; COMPUTE_PGM_RSRC2:USER_SGPR: 2
; COMPUTE_PGM_RSRC2:TRAP_HANDLER: 0
; COMPUTE_PGM_RSRC2:TGID_X_EN: 1
; COMPUTE_PGM_RSRC2:TGID_Y_EN: 0
; COMPUTE_PGM_RSRC2:TGID_Z_EN: 0
; COMPUTE_PGM_RSRC2:TIDIG_COMP_CNT: 0
	.text
	.protected	gridwise_generic_reduce_2 ; -- Begin function gridwise_generic_reduce_2
	.globl	gridwise_generic_reduce_2
	.p2align	8
	.type	gridwise_generic_reduce_2,@function
gridwise_generic_reduce_2:              ; @gridwise_generic_reduce_2
; %bb.0:
	s_load_b128 s[4:7], s[0:1], 0x18
	s_bfe_u32 s8, ttmp6, 0x4000c
	s_and_b32 s9, ttmp6, 15
	s_add_co_i32 s8, s8, 1
	s_getreg_b32 s10, hwreg(HW_REG_IB_STS2, 6, 4)
	s_mul_i32 s8, ttmp9, s8
	s_mov_b32 s13, 0
	s_add_co_i32 s9, s9, s8
	s_cmp_eq_u32 s10, 0
	s_wait_kmcnt 0x0
	s_clause 0x1
	s_load_b32 s12, s[6:7], 0x4
	s_load_b64 s[2:3], s[6:7], 0x808
	s_cselect_b32 s8, ttmp9, s9
	s_delay_alu instid0(SALU_CYCLE_1)
	v_lshl_add_u32 v0, s8, 8, v0
	s_wait_kmcnt 0x0
	s_cmp_lt_i32 s12, 1
	s_cbranch_scc1 .LBB1_3
; %bb.1:
	s_clause 0x1
	s_load_b32 s8, s[6:7], 0x8
	s_load_b32 s10, s[6:7], 0x14
	s_mov_b32 s11, 0x20000
	s_wait_kmcnt 0x0
	v_mul_lo_u32 v1, s8, v0
	s_add_nc_u64 s[8:9], s[6:7], 0x1000
	s_lshl_b32 s10, s10, 2
	s_delay_alu instid0(VALU_DEP_1)
	v_lshl_add_u32 v2, v1, 2, 28
	v_mov_b32_e32 v1, 0
.LBB1_2:                                ; =>This Inner Loop Header: Depth=1
	s_delay_alu instid0(VALU_DEP_2)
	v_subrev_nc_u32_e32 v3, 28, v2
	v_subrev_nc_u32_e32 v4, 24, v2
	;; [unrolled: 1-line block ×3, first 2 shown]
	v_dual_add_nc_u32 v6, -16, v2 :: v_dual_add_nc_u32 v7, -12, v2
	s_clause 0x4
	buffer_load_b32 v3, v3, s[8:11], null offen
	buffer_load_b32 v4, v4, s[8:11], null offen
	buffer_load_b32 v5, v5, s[8:11], null offen
	buffer_load_b32 v6, v6, s[8:11], null offen
	buffer_load_b32 v7, v7, s[8:11], null offen
	v_dual_add_nc_u32 v8, -8, v2 :: v_dual_add_nc_u32 v9, -4, v2
	s_clause 0x2
	buffer_load_b32 v10, v8, s[8:11], null offen
	buffer_load_b32 v11, v9, s[8:11], null offen
	;; [unrolled: 1-line block ×3, first 2 shown]
	s_add_co_i32 s13, s13, 8
	s_wait_xcnt 0x0
	v_add_nc_u32_e32 v2, 32, v2
	s_cmp_ge_i32 s13, s12
	s_wait_loadcnt 0x7
	v_add_f32_e32 v1, v1, v3
	s_wait_loadcnt 0x6
	s_delay_alu instid0(VALU_DEP_1) | instskip(SKIP_1) | instid1(VALU_DEP_1)
	v_add_f32_e32 v1, v1, v4
	s_wait_loadcnt 0x5
	v_add_f32_e32 v1, v1, v5
	s_wait_loadcnt 0x4
	s_delay_alu instid0(VALU_DEP_1) | instskip(SKIP_1) | instid1(VALU_DEP_1)
	v_add_f32_e32 v1, v1, v6
	;; [unrolled: 5-line block ×3, first 2 shown]
	s_wait_loadcnt 0x1
	v_add_f32_e32 v1, v1, v11
	s_wait_loadcnt 0x0
	s_delay_alu instid0(VALU_DEP_1)
	v_add_f32_e32 v1, v1, v12
	s_cbranch_scc0 .LBB1_2
	s_branch .LBB1_4
.LBB1_3:
	v_mov_b32_e32 v1, 0
.LBB1_4:
	s_clause 0x1
	s_load_b32 s10, s[6:7], 0x818
	s_load_b32 s9, s[6:7], 0x828
                                        ; kill: killed $sgpr6_sgpr7
	s_wait_xcnt 0x0
	s_clause 0x1
	s_load_b32 s6, s[0:1], 0x4
	s_load_b32 s8, s[0:1], 0x10
	s_mov_b32 s7, 0x20000
	s_wait_kmcnt 0x0
	s_cmp_eq_f32 s6, 1.0
	v_mul_f32_e32 v2, s6, v1
	s_cselect_b32 vcc_lo, -1, 0
	s_abs_i32 s1, s10
	s_delay_alu instid0(SALU_CYCLE_1) | instskip(SKIP_1) | instid1(SALU_CYCLE_2)
	s_cvt_f32_u32 s0, s1
	s_sub_co_i32 s6, 0, s1
	v_rcp_iflag_f32_e32 v3, s0
	v_nop
	s_delay_alu instid0(TRANS32_DEP_1) | instskip(SKIP_2) | instid1(VALU_DEP_1)
	v_readfirstlane_b32 s0, v3
	v_sub_nc_u32_e32 v3, 0, v0
	s_mul_f32 s0, s0, 0x4f7ffffe
	v_max_i32_e32 v3, v0, v3
	s_delay_alu instid0(SALU_CYCLE_2) | instskip(NEXT) | instid1(SALU_CYCLE_3)
	s_cvt_u32_f32 s0, s0
	s_mul_i32 s6, s6, s0
	s_delay_alu instid0(SALU_CYCLE_1) | instskip(NEXT) | instid1(SALU_CYCLE_1)
	s_mul_hi_u32 s6, s0, s6
	s_add_co_i32 s0, s0, s6
	s_lshl_b32 s6, s9, 2
	v_mul_hi_u32 v4, v3, s0
	s_cmp_neq_f32 s8, 0
	s_delay_alu instid0(VALU_DEP_1) | instskip(NEXT) | instid1(VALU_DEP_1)
	v_mul_lo_u32 v5, v4, s1
	v_dual_sub_nc_u32 v3, v3, v5 :: v_dual_add_nc_u32 v5, 1, v4
	s_delay_alu instid0(VALU_DEP_1) | instskip(NEXT) | instid1(VALU_DEP_1)
	v_cmp_le_u32_e64 s0, s1, v3
	v_cndmask_b32_e64 v4, v4, v5, s0
	v_subrev_nc_u32_e32 v6, s1, v3
	s_delay_alu instid0(VALU_DEP_1) | instskip(NEXT) | instid1(VALU_DEP_1)
	v_dual_cndmask_b32 v3, v3, v6, s0 :: v_dual_bitop2_b32 v5, s10, v0 bitop3:0x14
	v_dual_add_nc_u32 v6, 1, v4 :: v_dual_ashrrev_i32 v5, 31, v5
	s_delay_alu instid0(VALU_DEP_2) | instskip(NEXT) | instid1(VALU_DEP_1)
	v_cmp_le_u32_e64 s0, s1, v3
	v_cndmask_b32_e64 v3, v4, v6, s0
	s_delay_alu instid0(VALU_DEP_1) | instskip(NEXT) | instid1(VALU_DEP_1)
	v_xor_b32_e32 v3, v3, v5
	v_sub_nc_u32_e32 v3, v3, v5
	s_delay_alu instid0(VALU_DEP_1) | instskip(SKIP_1) | instid1(VALU_DEP_2)
	v_mul_lo_u32 v4, v3, s10
	v_mul_lo_u32 v3, v3, s2
	v_sub_nc_u32_e32 v0, v0, v4
	s_delay_alu instid0(VALU_DEP_1) | instskip(SKIP_1) | instid1(VALU_DEP_2)
	v_mul_lo_u32 v4, v0, s3
	v_cndmask_b32_e32 v0, v2, v1, vcc_lo
	v_add_lshl_u32 v1, v4, v3, 2
	s_cbranch_scc0 .LBB1_6
; %bb.5:
	buffer_load_b32 v2, v1, s[4:7], null offen
	s_wait_loadcnt 0x0
	v_fmac_f32_e32 v0, s8, v2
.LBB1_6:
	buffer_store_b32 v0, v1, s[4:7], null offen
	s_endpgm
	.section	.rodata,"a",@progbits
	.p2align	6, 0x0
	.amdhsa_kernel gridwise_generic_reduce_2
		.amdhsa_group_segment_fixed_size 0
		.amdhsa_private_segment_fixed_size 0
		.amdhsa_kernarg_size 56
		.amdhsa_user_sgpr_count 2
		.amdhsa_user_sgpr_dispatch_ptr 0
		.amdhsa_user_sgpr_queue_ptr 0
		.amdhsa_user_sgpr_kernarg_segment_ptr 1
		.amdhsa_user_sgpr_dispatch_id 0
		.amdhsa_user_sgpr_kernarg_preload_length 0
		.amdhsa_user_sgpr_kernarg_preload_offset 0
		.amdhsa_user_sgpr_private_segment_size 0
		.amdhsa_wavefront_size32 1
		.amdhsa_uses_dynamic_stack 0
		.amdhsa_enable_private_segment 0
		.amdhsa_system_sgpr_workgroup_id_x 1
		.amdhsa_system_sgpr_workgroup_id_y 0
		.amdhsa_system_sgpr_workgroup_id_z 0
		.amdhsa_system_sgpr_workgroup_info 0
		.amdhsa_system_vgpr_workitem_id 0
		.amdhsa_next_free_vgpr 13
		.amdhsa_next_free_sgpr 14
		.amdhsa_named_barrier_count 0
		.amdhsa_reserve_vcc 1
		.amdhsa_float_round_mode_32 0
		.amdhsa_float_round_mode_16_64 0
		.amdhsa_float_denorm_mode_32 3
		.amdhsa_float_denorm_mode_16_64 3
		.amdhsa_fp16_overflow 0
		.amdhsa_memory_ordered 1
		.amdhsa_forward_progress 1
		.amdhsa_inst_pref_size 6
		.amdhsa_round_robin_scheduling 0
		.amdhsa_exception_fp_ieee_invalid_op 0
		.amdhsa_exception_fp_denorm_src 0
		.amdhsa_exception_fp_ieee_div_zero 0
		.amdhsa_exception_fp_ieee_overflow 0
		.amdhsa_exception_fp_ieee_underflow 0
		.amdhsa_exception_fp_ieee_inexact 0
		.amdhsa_exception_int_div_zero 0
	.end_amdhsa_kernel
	.text
.Lfunc_end1:
	.size	gridwise_generic_reduce_2, .Lfunc_end1-gridwise_generic_reduce_2
                                        ; -- End function
	.set gridwise_generic_reduce_2.num_vgpr, 13
	.set gridwise_generic_reduce_2.num_agpr, 0
	.set gridwise_generic_reduce_2.numbered_sgpr, 14
	.set gridwise_generic_reduce_2.num_named_barrier, 0
	.set gridwise_generic_reduce_2.private_seg_size, 0
	.set gridwise_generic_reduce_2.uses_vcc, 1
	.set gridwise_generic_reduce_2.uses_flat_scratch, 0
	.set gridwise_generic_reduce_2.has_dyn_sized_stack, 0
	.set gridwise_generic_reduce_2.has_recursion, 0
	.set gridwise_generic_reduce_2.has_indirect_call, 0
	.section	.AMDGPU.csdata,"",@progbits
; Kernel info:
; codeLenInByte = 768
; TotalNumSgprs: 16
; NumVgprs: 13
; ScratchSize: 0
; MemoryBound: 0
; FloatMode: 240
; IeeeMode: 1
; LDSByteSize: 0 bytes/workgroup (compile time only)
; SGPRBlocks: 0
; VGPRBlocks: 0
; NumSGPRsForWavesPerEU: 16
; NumVGPRsForWavesPerEU: 13
; NamedBarCnt: 0
; Occupancy: 16
; WaveLimiterHint : 1
; COMPUTE_PGM_RSRC2:SCRATCH_EN: 0
; COMPUTE_PGM_RSRC2:USER_SGPR: 2
; COMPUTE_PGM_RSRC2:TRAP_HANDLER: 0
; COMPUTE_PGM_RSRC2:TGID_X_EN: 1
; COMPUTE_PGM_RSRC2:TGID_Y_EN: 0
; COMPUTE_PGM_RSRC2:TGID_Z_EN: 0
; COMPUTE_PGM_RSRC2:TIDIG_COMP_CNT: 0
	.text
	.p2alignl 7, 3214868480
	.fill 96, 4, 3214868480
	.section	.AMDGPU.gpr_maximums,"",@progbits
	.set amdgpu.max_num_vgpr, 0
	.set amdgpu.max_num_agpr, 0
	.set amdgpu.max_num_sgpr, 0
	.text
	.type	__hip_cuid_eb0e90df51ddcf35,@object ; @__hip_cuid_eb0e90df51ddcf35
	.section	.bss,"aw",@nobits
	.globl	__hip_cuid_eb0e90df51ddcf35
__hip_cuid_eb0e90df51ddcf35:
	.byte	0                               ; 0x0
	.size	__hip_cuid_eb0e90df51ddcf35, 1

	.ident	"AMD clang version 22.0.0git (https://github.com/RadeonOpenCompute/llvm-project roc-7.2.4 26084 f58b06dce1f9c15707c5f808fd002e18c2accf7e)"
	.section	".note.GNU-stack","",@progbits
	.addrsig
	.addrsig_sym __hip_cuid_eb0e90df51ddcf35
	.amdgpu_metadata
---
amdhsa.kernels:
  - .args:
      - .offset:         0
        .size:           4
        .value_kind:     by_value
      - .offset:         4
        .size:           4
        .value_kind:     by_value
      - .offset:         8
        .size:           4
        .value_kind:     by_value
      - .offset:         12
        .size:           4
        .value_kind:     by_value
      - .offset:         16
        .size:           4
        .value_kind:     by_value
      - .offset:         20
        .size:           4
        .value_kind:     by_value
      - .offset:         24
        .size:           4
        .value_kind:     by_value
      - .offset:         28
        .size:           4
        .value_kind:     by_value
      - .offset:         32
        .size:           4
        .value_kind:     by_value
      - .offset:         36
        .size:           4
        .value_kind:     by_value
      - .offset:         40
        .size:           4
        .value_kind:     by_value
      - .offset:         44
        .size:           4
        .value_kind:     by_value
      - .offset:         48
        .size:           4
        .value_kind:     by_value
      - .offset:         52
        .size:           4
        .value_kind:     by_value
      - .actual_access:  write_only
        .address_space:  global
        .offset:         56
        .size:           8
        .value_kind:     global_buffer
    .group_segment_fixed_size: 0
    .kernarg_segment_align: 8
    .kernarg_segment_size: 64
    .language:       OpenCL C
    .language_version:
      - 2
      - 0
    .max_flat_workgroup_size: 1024
    .name:           gridwise_generic_reduce_2_prepare
    .private_segment_fixed_size: 0
    .sgpr_count:     10
    .sgpr_spill_count: 0
    .symbol:         gridwise_generic_reduce_2_prepare.kd
    .uniform_work_group_size: 1
    .uses_dynamic_stack: false
    .vgpr_count:     10
    .vgpr_spill_count: 0
    .wavefront_size: 32
  - .args:
      - .offset:         0
        .size:           4
        .value_kind:     by_value
      - .offset:         4
        .size:           4
        .value_kind:     by_value
      - .actual_access:  read_only
        .address_space:  global
        .offset:         8
        .size:           8
        .value_kind:     global_buffer
      - .offset:         16
        .size:           4
        .value_kind:     by_value
      - .address_space:  global
        .offset:         24
        .size:           8
        .value_kind:     global_buffer
      - .address_space:  constant
        .offset:         32
        .size:           8
        .value_kind:     global_buffer
      - .offset:         40
        .size:           8
        .value_kind:     by_value
      - .actual_access:  read_only
        .address_space:  global
        .offset:         48
        .size:           8
        .value_kind:     global_buffer
    .group_segment_fixed_size: 0
    .kernarg_segment_align: 8
    .kernarg_segment_size: 56
    .language:       OpenCL C
    .language_version:
      - 2
      - 0
    .max_flat_workgroup_size: 1024
    .name:           gridwise_generic_reduce_2
    .private_segment_fixed_size: 0
    .sgpr_count:     16
    .sgpr_spill_count: 0
    .symbol:         gridwise_generic_reduce_2.kd
    .uniform_work_group_size: 1
    .uses_dynamic_stack: false
    .vgpr_count:     13
    .vgpr_spill_count: 0
    .wavefront_size: 32
amdhsa.target:   amdgcn-amd-amdhsa--gfx1250
amdhsa.version:
  - 1
  - 2
...

	.end_amdgpu_metadata
